;; amdgpu-corpus repo=ROCm/rocFFT kind=compiled arch=gfx950 opt=O3
	.text
	.amdgcn_target "amdgcn-amd-amdhsa--gfx950"
	.amdhsa_code_object_version 6
	.protected	fft_rtc_back_len352_factors_11_2_16_wgs_64_tpt_32_dp_ip_CI_unitstride_sbrr_C2R_dirReg ; -- Begin function fft_rtc_back_len352_factors_11_2_16_wgs_64_tpt_32_dp_ip_CI_unitstride_sbrr_C2R_dirReg
	.globl	fft_rtc_back_len352_factors_11_2_16_wgs_64_tpt_32_dp_ip_CI_unitstride_sbrr_C2R_dirReg
	.p2align	8
	.type	fft_rtc_back_len352_factors_11_2_16_wgs_64_tpt_32_dp_ip_CI_unitstride_sbrr_C2R_dirReg,@function
fft_rtc_back_len352_factors_11_2_16_wgs_64_tpt_32_dp_ip_CI_unitstride_sbrr_C2R_dirReg: ; @fft_rtc_back_len352_factors_11_2_16_wgs_64_tpt_32_dp_ip_CI_unitstride_sbrr_C2R_dirReg
; %bb.0:
	s_load_dwordx2 s[8:9], s[0:1], 0x50
	s_load_dwordx4 s[4:7], s[0:1], 0x0
	s_load_dwordx2 s[10:11], s[0:1], 0x18
	v_lshrrev_b32_e32 v1, 5, v0
	v_lshl_or_b32 v6, s2, 1, v1
	v_mov_b32_e32 v4, 0
	s_waitcnt lgkmcnt(0)
	v_cmp_lt_u64_e64 s[2:3], s[6:7], 2
	v_mov_b32_e32 v7, v4
	s_and_b64 vcc, exec, s[2:3]
	v_mov_b64_e32 v[2:3], 0
	s_cbranch_vccnz .LBB0_8
; %bb.1:
	s_load_dwordx2 s[2:3], s[0:1], 0x10
	s_add_u32 s12, s10, 8
	s_addc_u32 s13, s11, 0
	s_mov_b64 s[14:15], 1
	v_mov_b64_e32 v[2:3], 0
	s_waitcnt lgkmcnt(0)
	s_add_u32 s16, s2, 8
	s_addc_u32 s17, s3, 0
.LBB0_2:                                ; =>This Inner Loop Header: Depth=1
	s_load_dwordx2 s[18:19], s[16:17], 0x0
                                        ; implicit-def: $vgpr8_vgpr9
	s_waitcnt lgkmcnt(0)
	v_or_b32_e32 v5, s19, v7
	v_cmp_ne_u64_e32 vcc, 0, v[4:5]
	s_and_saveexec_b64 s[2:3], vcc
	s_xor_b64 s[20:21], exec, s[2:3]
	s_cbranch_execz .LBB0_4
; %bb.3:                                ;   in Loop: Header=BB0_2 Depth=1
	v_cvt_f32_u32_e32 v1, s18
	v_cvt_f32_u32_e32 v5, s19
	s_sub_u32 s2, 0, s18
	s_subb_u32 s3, 0, s19
	v_fmac_f32_e32 v1, 0x4f800000, v5
	v_rcp_f32_e32 v1, v1
	s_nop 0
	v_mul_f32_e32 v1, 0x5f7ffffc, v1
	v_mul_f32_e32 v5, 0x2f800000, v1
	v_trunc_f32_e32 v5, v5
	v_fmac_f32_e32 v1, 0xcf800000, v5
	v_cvt_u32_f32_e32 v5, v5
	v_cvt_u32_f32_e32 v1, v1
	v_mul_lo_u32 v8, s2, v5
	v_mul_hi_u32 v10, s2, v1
	v_mul_lo_u32 v9, s3, v1
	v_add_u32_e32 v10, v10, v8
	v_mul_lo_u32 v12, s2, v1
	v_add_u32_e32 v13, v10, v9
	v_mul_hi_u32 v8, v1, v12
	v_mul_hi_u32 v11, v1, v13
	v_mul_lo_u32 v10, v1, v13
	v_mov_b32_e32 v9, v4
	v_lshl_add_u64 v[8:9], v[8:9], 0, v[10:11]
	v_mul_hi_u32 v11, v5, v12
	v_mul_lo_u32 v12, v5, v12
	v_add_co_u32_e32 v8, vcc, v8, v12
	v_mul_hi_u32 v10, v5, v13
	s_nop 0
	v_addc_co_u32_e32 v8, vcc, v9, v11, vcc
	v_mov_b32_e32 v9, v4
	s_nop 0
	v_addc_co_u32_e32 v11, vcc, 0, v10, vcc
	v_mul_lo_u32 v10, v5, v13
	v_lshl_add_u64 v[8:9], v[8:9], 0, v[10:11]
	v_add_co_u32_e32 v1, vcc, v1, v8
	v_mul_lo_u32 v10, s2, v1
	s_nop 0
	v_addc_co_u32_e32 v5, vcc, v5, v9, vcc
	v_mul_lo_u32 v8, s2, v5
	v_mul_hi_u32 v9, s2, v1
	v_add_u32_e32 v8, v9, v8
	v_mul_lo_u32 v9, s3, v1
	v_add_u32_e32 v12, v8, v9
	v_mul_hi_u32 v14, v5, v10
	v_mul_lo_u32 v15, v5, v10
	v_mul_hi_u32 v9, v1, v12
	v_mul_lo_u32 v8, v1, v12
	v_mul_hi_u32 v10, v1, v10
	v_mov_b32_e32 v11, v4
	v_lshl_add_u64 v[8:9], v[10:11], 0, v[8:9]
	v_add_co_u32_e32 v8, vcc, v8, v15
	v_mul_hi_u32 v13, v5, v12
	s_nop 0
	v_addc_co_u32_e32 v8, vcc, v9, v14, vcc
	v_mul_lo_u32 v10, v5, v12
	s_nop 0
	v_addc_co_u32_e32 v11, vcc, 0, v13, vcc
	v_mov_b32_e32 v9, v4
	v_lshl_add_u64 v[8:9], v[8:9], 0, v[10:11]
	v_add_co_u32_e32 v1, vcc, v1, v8
	v_mul_hi_u32 v10, v6, v1
	s_nop 0
	v_addc_co_u32_e32 v5, vcc, v5, v9, vcc
	v_mad_u64_u32 v[8:9], s[2:3], v6, v5, 0
	v_mov_b32_e32 v11, v4
	v_lshl_add_u64 v[8:9], v[10:11], 0, v[8:9]
	v_mad_u64_u32 v[12:13], s[2:3], v7, v1, 0
	v_add_co_u32_e32 v1, vcc, v8, v12
	v_mad_u64_u32 v[10:11], s[2:3], v7, v5, 0
	s_nop 0
	v_addc_co_u32_e32 v8, vcc, v9, v13, vcc
	v_mov_b32_e32 v9, v4
	s_nop 0
	v_addc_co_u32_e32 v11, vcc, 0, v11, vcc
	v_lshl_add_u64 v[8:9], v[8:9], 0, v[10:11]
	v_mul_lo_u32 v1, s19, v8
	v_mul_lo_u32 v5, s18, v9
	v_mad_u64_u32 v[10:11], s[2:3], s18, v8, 0
	v_add3_u32 v1, v11, v5, v1
	v_sub_u32_e32 v5, v7, v1
	v_mov_b32_e32 v11, s19
	v_sub_co_u32_e32 v14, vcc, v6, v10
	v_lshl_add_u64 v[12:13], v[8:9], 0, 1
	s_nop 0
	v_subb_co_u32_e64 v5, s[2:3], v5, v11, vcc
	v_subrev_co_u32_e64 v10, s[2:3], s18, v14
	v_subb_co_u32_e32 v1, vcc, v7, v1, vcc
	s_nop 0
	v_subbrev_co_u32_e64 v5, s[2:3], 0, v5, s[2:3]
	v_cmp_le_u32_e64 s[2:3], s19, v5
	v_cmp_le_u32_e32 vcc, s19, v1
	s_nop 0
	v_cndmask_b32_e64 v11, 0, -1, s[2:3]
	v_cmp_le_u32_e64 s[2:3], s18, v10
	s_nop 1
	v_cndmask_b32_e64 v10, 0, -1, s[2:3]
	v_cmp_eq_u32_e64 s[2:3], s19, v5
	s_nop 1
	v_cndmask_b32_e64 v5, v11, v10, s[2:3]
	v_lshl_add_u64 v[10:11], v[8:9], 0, 2
	v_cmp_ne_u32_e64 s[2:3], 0, v5
	s_nop 1
	v_cndmask_b32_e64 v5, v13, v11, s[2:3]
	v_cndmask_b32_e64 v11, 0, -1, vcc
	v_cmp_le_u32_e32 vcc, s18, v14
	s_nop 1
	v_cndmask_b32_e64 v13, 0, -1, vcc
	v_cmp_eq_u32_e32 vcc, s19, v1
	s_nop 1
	v_cndmask_b32_e32 v1, v11, v13, vcc
	v_cmp_ne_u32_e32 vcc, 0, v1
	v_cndmask_b32_e64 v1, v12, v10, s[2:3]
	s_nop 0
	v_cndmask_b32_e32 v9, v9, v5, vcc
	v_cndmask_b32_e32 v8, v8, v1, vcc
.LBB0_4:                                ;   in Loop: Header=BB0_2 Depth=1
	s_andn2_saveexec_b64 s[2:3], s[20:21]
	s_cbranch_execz .LBB0_6
; %bb.5:                                ;   in Loop: Header=BB0_2 Depth=1
	v_cvt_f32_u32_e32 v1, s18
	s_sub_i32 s20, 0, s18
	v_rcp_iflag_f32_e32 v1, v1
	s_nop 0
	v_mul_f32_e32 v1, 0x4f7ffffe, v1
	v_cvt_u32_f32_e32 v1, v1
	v_mul_lo_u32 v5, s20, v1
	v_mul_hi_u32 v5, v1, v5
	v_add_u32_e32 v1, v1, v5
	v_mul_hi_u32 v1, v6, v1
	v_mul_lo_u32 v5, v1, s18
	v_sub_u32_e32 v5, v6, v5
	v_add_u32_e32 v8, 1, v1
	v_subrev_u32_e32 v9, s18, v5
	v_cmp_le_u32_e32 vcc, s18, v5
	s_nop 1
	v_cndmask_b32_e32 v5, v5, v9, vcc
	v_cndmask_b32_e32 v1, v1, v8, vcc
	v_add_u32_e32 v8, 1, v1
	v_cmp_le_u32_e32 vcc, s18, v5
	v_mov_b32_e32 v9, v4
	s_nop 0
	v_cndmask_b32_e32 v8, v1, v8, vcc
.LBB0_6:                                ;   in Loop: Header=BB0_2 Depth=1
	s_or_b64 exec, exec, s[2:3]
	v_mad_u64_u32 v[10:11], s[2:3], v8, s18, 0
	s_load_dwordx2 s[2:3], s[12:13], 0x0
	v_mul_lo_u32 v1, v9, s18
	v_mul_lo_u32 v5, v8, s19
	v_add3_u32 v1, v11, v5, v1
	v_sub_co_u32_e32 v5, vcc, v6, v10
	s_add_u32 s14, s14, 1
	s_nop 0
	v_subb_co_u32_e32 v1, vcc, v7, v1, vcc
	s_addc_u32 s15, s15, 0
	s_waitcnt lgkmcnt(0)
	v_mul_lo_u32 v1, s2, v1
	v_mul_lo_u32 v6, s3, v5
	v_mad_u64_u32 v[2:3], s[2:3], s2, v5, v[2:3]
	s_add_u32 s12, s12, 8
	v_add3_u32 v3, v6, v3, v1
	s_addc_u32 s13, s13, 0
	v_mov_b64_e32 v[6:7], s[6:7]
	s_add_u32 s16, s16, 8
	v_cmp_ge_u64_e32 vcc, s[14:15], v[6:7]
	s_addc_u32 s17, s17, 0
	s_cbranch_vccnz .LBB0_9
; %bb.7:                                ;   in Loop: Header=BB0_2 Depth=1
	v_mov_b64_e32 v[6:7], v[8:9]
	s_branch .LBB0_2
.LBB0_8:
	v_mov_b64_e32 v[8:9], v[6:7]
.LBB0_9:
	s_lshl_b64 s[2:3], s[6:7], 3
	s_add_u32 s2, s10, s2
	s_addc_u32 s3, s11, s3
	s_load_dwordx2 s[6:7], s[2:3], 0x0
	s_load_dwordx2 s[10:11], s[0:1], 0x20
	v_and_b32_e32 v66, 31, v0
	s_waitcnt lgkmcnt(0)
	v_mul_lo_u32 v1, s6, v9
	v_mul_lo_u32 v4, s7, v8
	v_mad_u64_u32 v[2:3], s[0:1], s6, v8, v[2:3]
	v_add3_u32 v3, v4, v3, v1
	v_and_b32_e32 v1, 32, v0
	v_mov_b32_e32 v4, 0x161
	v_cmp_ne_u32_e32 vcc, 0, v1
	v_cmp_gt_u64_e64 s[0:1], s[10:11], v[8:9]
	v_lshl_add_u64 v[64:65], v[2:3], 4, s[8:9]
	v_cndmask_b32_e32 v1, 0, v4, vcc
	v_lshlrev_b32_e32 v56, 4, v1
	s_and_saveexec_b64 s[2:3], s[0:1]
	s_cbranch_execz .LBB0_13
; %bb.10:
	v_lshlrev_b32_e32 v42, 4, v66
	v_mov_b32_e32 v43, 0
	v_lshl_add_u64 v[34:35], v[64:65], 0, v[42:43]
	global_load_dwordx4 v[2:5], v[34:35], off
	global_load_dwordx4 v[6:9], v[34:35], off offset:512
	global_load_dwordx4 v[10:13], v[34:35], off offset:1024
	;; [unrolled: 1-line block ×7, first 2 shown]
	v_or_b32_e32 v34, 0x1000, v42
	v_mov_b32_e32 v35, v43
	v_lshl_add_u64 v[44:45], v[64:65], 0, v[34:35]
	v_or_b32_e32 v34, 0x1200, v42
	v_lshl_add_u64 v[46:47], v[64:65], 0, v[34:35]
	global_load_dwordx4 v[34:37], v[44:45], off
	global_load_dwordx4 v[38:41], v[46:47], off
	v_add3_u32 v0, 0, v56, v42
	v_or_b32_e32 v42, 0x1400, v42
	v_lshl_add_u64 v[42:43], v[64:65], 0, v[42:43]
	global_load_dwordx4 v[42:45], v[42:43], off
	v_cmp_eq_u32_e32 vcc, 31, v66
	s_waitcnt vmcnt(10)
	ds_write_b128 v0, v[2:5]
	s_waitcnt vmcnt(9)
	ds_write_b128 v0, v[6:9] offset:512
	s_waitcnt vmcnt(8)
	ds_write_b128 v0, v[10:13] offset:1024
	;; [unrolled: 2-line block ×10, first 2 shown]
	s_and_saveexec_b64 s[6:7], vcc
	s_cbranch_execz .LBB0_12
; %bb.11:
	v_add_co_u32_e32 v2, vcc, 0x1000, v64
	v_mov_b32_e32 v66, 31
	s_nop 0
	v_addc_co_u32_e32 v3, vcc, 0, v65, vcc
	global_load_dwordx4 v[2:5], v[2:3], off offset:1536
	s_waitcnt vmcnt(0)
	ds_write_b128 v0, v[2:5] offset:5136
.LBB0_12:
	s_or_b64 exec, exec, s[6:7]
.LBB0_13:
	s_or_b64 exec, exec, s[2:3]
	v_lshl_add_u32 v68, v1, 4, 0
	v_lshlrev_b32_e32 v10, 4, v66
	v_add_u32_e32 v69, v68, v10
	s_waitcnt lgkmcnt(0)
	; wave barrier
	s_waitcnt lgkmcnt(0)
	v_sub_u32_e32 v11, v68, v10
	ds_read_b64 v[6:7], v69
	ds_read_b64 v[8:9], v11 offset:5632
	s_add_u32 s2, s4, 0x1550
	s_addc_u32 s3, s5, 0
	v_cmp_ne_u32_e32 vcc, 0, v66
                                        ; implicit-def: $vgpr4_vgpr5
	s_waitcnt lgkmcnt(0)
	v_add_f64 v[0:1], v[6:7], v[8:9]
	v_add_f64 v[2:3], v[6:7], -v[8:9]
	s_and_saveexec_b64 s[6:7], vcc
	s_xor_b64 s[6:7], exec, s[6:7]
	s_cbranch_execz .LBB0_15
; %bb.14:
	global_load_dwordx4 v[12:15], v10, s[2:3]
	ds_read_b64 v[0:1], v11 offset:5640
	ds_read_b64 v[2:3], v69 offset:8
	v_add_f64 v[4:5], v[6:7], v[8:9]
	v_add_f64 v[8:9], v[6:7], -v[8:9]
	v_mov_b32_e32 v67, 0
	s_waitcnt lgkmcnt(0)
	v_add_f64 v[16:17], v[0:1], v[2:3]
	v_add_f64 v[0:1], v[2:3], -v[0:1]
	s_waitcnt vmcnt(0)
	v_fma_f64 v[18:19], v[8:9], v[14:15], v[4:5]
	v_fma_f64 v[4:5], -v[8:9], v[14:15], v[4:5]
	v_fma_f64 v[6:7], v[16:17], v[14:15], -v[0:1]
	v_fma_f64 v[2:3], v[16:17], v[14:15], v[0:1]
	v_fmac_f64_e32 v[4:5], v[16:17], v[12:13]
	v_fmac_f64_e32 v[6:7], v[8:9], v[12:13]
	v_fma_f64 v[0:1], -v[16:17], v[12:13], v[18:19]
	v_fmac_f64_e32 v[2:3], v[8:9], v[12:13]
	ds_write_b128 v11, v[4:7] offset:5632
	v_mov_b64_e32 v[4:5], v[66:67]
.LBB0_15:
	s_andn2_saveexec_b64 s[6:7], s[6:7]
	s_cbranch_execz .LBB0_17
; %bb.16:
	ds_read_b128 v[4:7], v68 offset:2816
	s_waitcnt lgkmcnt(0)
	v_add_f64 v[4:5], v[4:5], v[4:5]
	v_mul_f64 v[6:7], v[6:7], -2.0
	ds_write_b128 v68, v[4:7] offset:2816
	v_mov_b64_e32 v[4:5], 0
.LBB0_17:
	s_or_b64 exec, exec, s[6:7]
	v_lshl_add_u64 v[4:5], v[4:5], 4, s[2:3]
	global_load_dwordx4 v[6:9], v[4:5], off offset:512
	global_load_dwordx4 v[12:15], v[4:5], off offset:1024
	;; [unrolled: 1-line block ×4, first 2 shown]
	ds_write_b128 v69, v[0:3]
	ds_read_b128 v[0:3], v69 offset:512
	ds_read_b128 v[24:27], v11 offset:5120
	v_or_b32_e32 v57, 0xa0, v66
	s_movk_i32 s2, 0xb0
	s_movk_i32 s33, 0xa0
	v_cmp_gt_u32_e32 vcc, s2, v57
	s_waitcnt lgkmcnt(0)
	v_add_f64 v[28:29], v[0:1], v[24:25]
	v_add_f64 v[30:31], v[26:27], v[2:3]
	v_add_f64 v[32:33], v[0:1], -v[24:25]
	v_add_f64 v[0:1], v[2:3], -v[26:27]
	s_waitcnt vmcnt(3)
	v_fma_f64 v[34:35], v[32:33], v[8:9], v[28:29]
	v_fma_f64 v[2:3], v[30:31], v[8:9], v[0:1]
	v_fma_f64 v[24:25], -v[32:33], v[8:9], v[28:29]
	v_fma_f64 v[26:27], v[30:31], v[8:9], -v[0:1]
	v_fma_f64 v[0:1], -v[30:31], v[6:7], v[34:35]
	v_fmac_f64_e32 v[2:3], v[32:33], v[6:7]
	v_fmac_f64_e32 v[24:25], v[30:31], v[6:7]
	v_fmac_f64_e32 v[26:27], v[32:33], v[6:7]
	ds_write_b128 v69, v[0:3] offset:512
	ds_write_b128 v11, v[24:27] offset:5120
	ds_read_b128 v[0:3], v69 offset:1024
	ds_read_b128 v[6:9], v11 offset:4608
	s_waitcnt lgkmcnt(0)
	v_add_f64 v[24:25], v[0:1], v[6:7]
	v_add_f64 v[26:27], v[8:9], v[2:3]
	v_add_f64 v[28:29], v[0:1], -v[6:7]
	v_add_f64 v[0:1], v[2:3], -v[8:9]
	s_waitcnt vmcnt(2)
	v_fma_f64 v[30:31], v[28:29], v[14:15], v[24:25]
	v_fma_f64 v[2:3], v[26:27], v[14:15], v[0:1]
	v_fma_f64 v[6:7], -v[28:29], v[14:15], v[24:25]
	v_fma_f64 v[8:9], v[26:27], v[14:15], -v[0:1]
	v_fma_f64 v[0:1], -v[26:27], v[12:13], v[30:31]
	v_fmac_f64_e32 v[2:3], v[28:29], v[12:13]
	v_fmac_f64_e32 v[6:7], v[26:27], v[12:13]
	v_fmac_f64_e32 v[8:9], v[28:29], v[12:13]
	ds_write_b128 v69, v[0:3] offset:1024
	ds_write_b128 v11, v[6:9] offset:4608
	ds_read_b128 v[0:3], v69 offset:1536
	ds_read_b128 v[6:9], v11 offset:4096
	;; [unrolled: 18-line block ×3, first 2 shown]
	s_waitcnt lgkmcnt(0)
	v_add_f64 v[12:13], v[0:1], v[6:7]
	v_add_f64 v[14:15], v[8:9], v[2:3]
	v_add_f64 v[16:17], v[0:1], -v[6:7]
	v_add_f64 v[0:1], v[2:3], -v[8:9]
	s_waitcnt vmcnt(0)
	v_fma_f64 v[18:19], v[16:17], v[22:23], v[12:13]
	v_fma_f64 v[2:3], v[14:15], v[22:23], v[0:1]
	v_fma_f64 v[6:7], -v[16:17], v[22:23], v[12:13]
	v_fma_f64 v[8:9], v[14:15], v[22:23], -v[0:1]
	v_fma_f64 v[0:1], -v[14:15], v[20:21], v[18:19]
	v_fmac_f64_e32 v[2:3], v[16:17], v[20:21]
	v_fmac_f64_e32 v[6:7], v[14:15], v[20:21]
	;; [unrolled: 1-line block ×3, first 2 shown]
	ds_write_b128 v69, v[0:3] offset:2048
	ds_write_b128 v11, v[6:9] offset:3584
	s_and_saveexec_b64 s[2:3], vcc
	s_cbranch_execz .LBB0_19
; %bb.18:
	global_load_dwordx4 v[0:3], v[4:5], off offset:2560
	ds_read_b128 v[4:7], v69 offset:2560
	ds_read_b128 v[12:15], v11 offset:3072
	s_waitcnt lgkmcnt(0)
	v_add_f64 v[8:9], v[4:5], v[12:13]
	v_add_f64 v[16:17], v[14:15], v[6:7]
	v_add_f64 v[12:13], v[4:5], -v[12:13]
	v_add_f64 v[14:15], v[6:7], -v[14:15]
	s_waitcnt vmcnt(0)
	v_fma_f64 v[18:19], v[12:13], v[2:3], v[8:9]
	v_fma_f64 v[4:5], v[16:17], v[2:3], v[14:15]
	v_fma_f64 v[6:7], -v[12:13], v[2:3], v[8:9]
	v_fma_f64 v[8:9], v[16:17], v[2:3], -v[14:15]
	v_fma_f64 v[2:3], -v[16:17], v[0:1], v[18:19]
	v_fmac_f64_e32 v[4:5], v[12:13], v[0:1]
	v_fmac_f64_e32 v[6:7], v[16:17], v[0:1]
	;; [unrolled: 1-line block ×3, first 2 shown]
	ds_write_b128 v69, v[2:5] offset:2560
	ds_write_b128 v11, v[6:9] offset:3072
.LBB0_19:
	s_or_b64 exec, exec, s[2:3]
	s_waitcnt lgkmcnt(0)
	; wave barrier
	s_waitcnt lgkmcnt(0)
	s_waitcnt lgkmcnt(0)
	; wave barrier
	s_waitcnt lgkmcnt(0)
	v_add3_u32 v67, 0, v10, v56
	ds_read_b128 v[4:7], v69
	ds_read_b128 v[28:31], v67 offset:512
	ds_read_b128 v[34:37], v67 offset:1024
	;; [unrolled: 1-line block ×10, first 2 shown]
	s_waitcnt lgkmcnt(9)
	v_add_f64 v[0:1], v[4:5], v[28:29]
	v_add_f64 v[2:3], v[6:7], v[30:31]
	s_waitcnt lgkmcnt(8)
	v_add_f64 v[0:1], v[0:1], v[34:35]
	v_add_f64 v[2:3], v[2:3], v[36:37]
	;; [unrolled: 3-line block ×7, first 2 shown]
	s_waitcnt lgkmcnt(2)
	v_add_f64 v[0:1], v[0:1], v[42:43]
	s_mov_b32 s2, 0xf8bb580b
	s_mov_b32 s18, 0x8eee2c13
	;; [unrolled: 1-line block ×5, first 2 shown]
	v_add_f64 v[2:3], v[2:3], v[44:45]
	s_waitcnt lgkmcnt(1)
	v_add_f64 v[0:1], v[0:1], v[38:39]
	s_waitcnt lgkmcnt(0)
	v_add_f64 v[54:55], v[30:31], -v[60:61]
	s_mov_b32 s3, 0xbfe14ced
	s_mov_b32 s12, 0x8764f0ba
	s_mov_b32 s19, 0xbfed1bb4
	s_mov_b32 s10, 0xd9c712b6
	s_mov_b32 s7, 0xbfefac9e
	s_mov_b32 s8, 0x640f44db
	s_mov_b32 s15, 0xbfe82f19
	s_mov_b32 s16, 0x7f775887
	s_mov_b32 s29, 0xbfd207e7
	s_mov_b32 s30, 0x9bcd5057
	v_add_f64 v[2:3], v[2:3], v[40:41]
	v_add_f64 v[0:1], v[0:1], v[58:59]
	v_add_f64 v[52:53], v[28:29], v[58:59]
	v_add_f64 v[48:49], v[30:31], v[60:61]
	v_add_f64 v[46:47], v[28:29], -v[58:59]
	v_add_f64 v[28:29], v[34:35], v[38:39]
	v_add_f64 v[32:33], v[36:37], v[40:41]
	v_add_f64 v[30:31], v[34:35], -v[38:39]
	v_add_f64 v[34:35], v[36:37], -v[40:41]
	v_add_f64 v[36:37], v[24:25], v[42:43]
	v_add_f64 v[40:41], v[26:27], v[44:45]
	v_add_f64 v[38:39], v[24:25], -v[42:43]
	v_add_f64 v[42:43], v[26:27], -v[44:45]
	v_add_f64 v[44:45], v[16:17], v[20:21]
	v_add_f64 v[16:17], v[16:17], -v[20:21]
	v_add_f64 v[20:21], v[8:9], v[12:13]
	v_add_f64 v[8:9], v[8:9], -v[12:13]
	v_mul_f64 v[12:13], v[54:55], s[2:3]
	s_mov_b32 s13, 0x3feaeb8c
	v_mul_f64 v[24:25], v[54:55], s[18:19]
	s_mov_b32 s11, 0x3fda9628
	s_mov_b32 s9, 0xbfc2375f
	v_mul_f64 v[58:59], v[54:55], s[6:7]
	s_mov_b32 s17, 0xbfe4f49e
	v_mul_f64 v[62:63], v[54:55], s[14:15]
	v_mul_f64 v[54:55], v[54:55], s[28:29]
	s_mov_b32 s31, 0xbfeeb42a
	v_add_f64 v[2:3], v[2:3], v[60:61]
	v_add_f64 v[50:51], v[18:19], v[22:23]
	v_add_f64 v[18:19], v[18:19], -v[22:23]
	v_add_f64 v[22:23], v[10:11], v[14:15]
	v_add_f64 v[10:11], v[10:11], -v[14:15]
	v_fma_f64 v[14:15], s[12:13], v[52:53], v[12:13]
	v_fma_f64 v[12:13], v[52:53], s[12:13], -v[12:13]
	v_fma_f64 v[26:27], s[10:11], v[52:53], v[24:25]
	v_fma_f64 v[24:25], v[52:53], s[10:11], -v[24:25]
	;; [unrolled: 2-line block ×5, first 2 shown]
	s_mov_b32 s23, 0x3fe14ced
	s_mov_b32 s22, s2
	v_mul_f64 v[54:55], v[48:49], s[12:13]
	v_fma_f64 v[74:75], s[22:23], v[46:47], v[54:55]
	s_mov_b32 s21, 0x3fed1bb4
	s_mov_b32 s20, s18
	v_mul_f64 v[76:77], v[48:49], s[10:11]
	s_mov_b32 s25, 0x3fefac9e
	s_mov_b32 s24, s6
	v_mul_f64 v[80:81], v[48:49], s[8:9]
	;; [unrolled: 3-line block ×3, first 2 shown]
	v_mul_f64 v[48:49], v[48:49], s[30:31]
	s_mov_b32 s35, 0x3fd207e7
	s_mov_b32 s34, s28
	v_add_f64 v[90:91], v[4:5], v[24:25]
	v_mul_f64 v[24:25], v[34:35], s[18:19]
	v_fmac_f64_e32 v[54:55], s[2:3], v[46:47]
	v_fma_f64 v[78:79], s[20:21], v[46:47], v[76:77]
	v_fmac_f64_e32 v[76:77], s[18:19], v[46:47]
	v_fma_f64 v[82:83], s[24:25], v[46:47], v[80:81]
	;; [unrolled: 2-line block ×4, first 2 shown]
	v_fmac_f64_e32 v[48:49], s[28:29], v[46:47]
	v_add_f64 v[14:15], v[4:5], v[14:15]
	v_add_f64 v[46:47], v[6:7], v[74:75]
	;; [unrolled: 1-line block ×10, first 2 shown]
	v_fma_f64 v[4:5], s[10:11], v[28:29], v[24:25]
	v_add_f64 v[4:5], v[4:5], v[14:15]
	v_mul_f64 v[14:15], v[32:33], s[10:11]
	v_add_f64 v[54:55], v[6:7], v[54:55]
	v_add_f64 v[78:79], v[6:7], v[78:79]
	;; [unrolled: 1-line block ×9, first 2 shown]
	v_fma_f64 v[6:7], s[20:21], v[30:31], v[14:15]
	v_mul_f64 v[26:27], v[42:43], s[6:7]
	v_add_f64 v[6:7], v[6:7], v[46:47]
	v_fma_f64 v[46:47], s[8:9], v[36:37], v[26:27]
	v_add_f64 v[4:5], v[46:47], v[4:5]
	v_mul_f64 v[46:47], v[40:41], s[8:9]
	v_fma_f64 v[48:49], s[24:25], v[38:39], v[46:47]
	v_add_f64 v[6:7], v[48:49], v[6:7]
	v_mul_f64 v[48:49], v[18:19], s[14:15]
	;; [unrolled: 3-line block ×3, first 2 shown]
	v_fma_f64 v[24:25], v[28:29], s[10:11], -v[24:25]
	v_fma_f64 v[72:73], s[26:27], v[16:17], v[52:53]
	v_add_f64 v[12:13], v[24:25], v[12:13]
	v_fmac_f64_e32 v[14:15], s[18:19], v[30:31]
	v_fma_f64 v[24:25], v[36:37], s[8:9], -v[26:27]
	v_add_f64 v[6:7], v[72:73], v[6:7]
	v_mul_f64 v[72:73], v[10:11], s[28:29]
	v_add_f64 v[14:15], v[14:15], v[54:55]
	v_add_f64 v[12:13], v[24:25], v[12:13]
	v_fmac_f64_e32 v[46:47], s[6:7], v[38:39]
	v_fma_f64 v[24:25], v[44:45], s[16:17], -v[48:49]
	v_fma_f64 v[98:99], s[30:31], v[20:21], v[72:73]
	v_add_f64 v[14:15], v[46:47], v[14:15]
	v_add_f64 v[12:13], v[24:25], v[12:13]
	v_fmac_f64_e32 v[52:53], s[14:15], v[16:17]
	v_fma_f64 v[24:25], v[20:21], s[30:31], -v[72:73]
	v_mul_f64 v[46:47], v[34:35], s[14:15]
	v_add_f64 v[4:5], v[98:99], v[4:5]
	v_mul_f64 v[98:99], v[22:23], s[30:31]
	v_add_f64 v[14:15], v[52:53], v[14:15]
	v_add_f64 v[24:25], v[24:25], v[12:13]
	v_fma_f64 v[12:13], s[16:17], v[28:29], v[46:47]
	v_mul_f64 v[52:53], v[42:43], s[34:35]
	v_fma_f64 v[100:101], s[34:35], v[8:9], v[98:99]
	v_fmac_f64_e32 v[98:99], s[28:29], v[8:9]
	v_add_f64 v[12:13], v[12:13], v[74:75]
	v_mul_f64 v[48:49], v[32:33], s[16:17]
	v_fma_f64 v[54:55], s[30:31], v[36:37], v[52:53]
	v_add_f64 v[26:27], v[98:99], v[14:15]
	v_fma_f64 v[14:15], s[26:27], v[30:31], v[48:49]
	v_add_f64 v[12:13], v[54:55], v[12:13]
	v_mul_f64 v[54:55], v[40:41], s[30:31]
	v_add_f64 v[14:15], v[14:15], v[78:79]
	v_fma_f64 v[72:73], s[28:29], v[38:39], v[54:55]
	v_add_f64 v[14:15], v[72:73], v[14:15]
	v_mul_f64 v[72:73], v[18:19], s[24:25]
	v_fma_f64 v[74:75], s[8:9], v[44:45], v[72:73]
	v_add_f64 v[12:13], v[74:75], v[12:13]
	v_mul_f64 v[74:75], v[50:51], s[8:9]
	v_fma_f64 v[46:47], v[28:29], s[16:17], -v[46:47]
	v_fma_f64 v[78:79], s[6:7], v[16:17], v[74:75]
	v_add_f64 v[46:47], v[46:47], v[90:91]
	v_fmac_f64_e32 v[48:49], s[14:15], v[30:31]
	v_fma_f64 v[52:53], v[36:37], s[30:31], -v[52:53]
	v_add_f64 v[14:15], v[78:79], v[14:15]
	v_mul_f64 v[78:79], v[10:11], s[22:23]
	v_add_f64 v[48:49], v[48:49], v[76:77]
	v_add_f64 v[46:47], v[52:53], v[46:47]
	v_fmac_f64_e32 v[54:55], s[34:35], v[38:39]
	v_fma_f64 v[52:53], v[44:45], s[8:9], -v[72:73]
	v_add_f64 v[48:49], v[54:55], v[48:49]
	v_add_f64 v[46:47], v[52:53], v[46:47]
	v_fmac_f64_e32 v[74:75], s[24:25], v[16:17]
	v_fma_f64 v[52:53], v[20:21], s[12:13], -v[78:79]
	v_mul_f64 v[72:73], v[34:35], s[34:35]
	v_add_f64 v[48:49], v[74:75], v[48:49]
	v_add_f64 v[46:47], v[52:53], v[46:47]
	v_fma_f64 v[52:53], s[30:31], v[28:29], v[72:73]
	v_mul_f64 v[74:75], v[42:43], s[20:21]
	v_add_f64 v[52:53], v[52:53], v[60:61]
	v_mul_f64 v[60:61], v[32:33], s[30:31]
	v_fma_f64 v[76:77], s[10:11], v[36:37], v[74:75]
	v_fma_f64 v[54:55], s[28:29], v[30:31], v[60:61]
	v_add_f64 v[52:53], v[76:77], v[52:53]
	v_mul_f64 v[76:77], v[40:41], s[10:11]
	v_fma_f64 v[98:99], s[12:13], v[20:21], v[78:79]
	v_add_f64 v[54:55], v[54:55], v[82:83]
	v_fma_f64 v[78:79], s[18:19], v[38:39], v[76:77]
	v_add_f64 v[54:55], v[78:79], v[54:55]
	v_mul_f64 v[78:79], v[18:19], s[2:3]
	v_fma_f64 v[82:83], s[12:13], v[44:45], v[78:79]
	v_add_f64 v[52:53], v[82:83], v[52:53]
	v_mul_f64 v[82:83], v[50:51], s[12:13]
	v_fma_f64 v[72:73], v[28:29], s[30:31], -v[72:73]
	v_fma_f64 v[90:91], s[22:23], v[16:17], v[82:83]
	v_add_f64 v[58:59], v[72:73], v[58:59]
	v_fma_f64 v[72:73], v[36:37], s[10:11], -v[74:75]
	v_add_f64 v[54:55], v[90:91], v[54:55]
	v_mul_f64 v[90:91], v[10:11], s[14:15]
	v_add_f64 v[58:59], v[72:73], v[58:59]
	v_fma_f64 v[72:73], v[44:45], s[12:13], -v[78:79]
	v_fmac_f64_e32 v[60:61], s[34:35], v[30:31]
	v_add_f64 v[58:59], v[72:73], v[58:59]
	v_fma_f64 v[72:73], v[20:21], s[16:17], -v[90:91]
	v_mul_f64 v[74:75], v[34:35], s[24:25]
	v_add_f64 v[60:61], v[60:61], v[80:81]
	v_fmac_f64_e32 v[76:77], s[20:21], v[38:39]
	v_add_f64 v[58:59], v[72:73], v[58:59]
	v_fma_f64 v[72:73], s[8:9], v[28:29], v[74:75]
	v_mul_f64 v[78:79], v[42:43], s[2:3]
	v_add_f64 v[60:61], v[76:77], v[60:61]
	v_add_f64 v[70:71], v[72:73], v[70:71]
	v_mul_f64 v[76:77], v[32:33], s[8:9]
	v_fma_f64 v[80:81], s[12:13], v[36:37], v[78:79]
	v_fmac_f64_e32 v[82:83], s[2:3], v[16:17]
	v_fma_f64 v[72:73], s[6:7], v[30:31], v[76:77]
	v_add_f64 v[70:71], v[80:81], v[70:71]
	v_mul_f64 v[80:81], v[40:41], s[12:13]
	v_add_f64 v[60:61], v[82:83], v[60:61]
	v_add_f64 v[72:73], v[72:73], v[86:87]
	v_fma_f64 v[82:83], s[22:23], v[38:39], v[80:81]
	v_add_f64 v[72:73], v[82:83], v[72:73]
	v_mul_f64 v[82:83], v[18:19], s[28:29]
	v_add_f64 v[12:13], v[98:99], v[12:13]
	v_mul_f64 v[98:99], v[22:23], s[12:13]
	v_fma_f64 v[86:87], s[30:31], v[44:45], v[82:83]
	v_add_f64 v[6:7], v[100:101], v[6:7]
	v_fma_f64 v[100:101], s[2:3], v[8:9], v[98:99]
	v_fmac_f64_e32 v[98:99], s[22:23], v[8:9]
	v_add_f64 v[70:71], v[86:87], v[70:71]
	v_mul_f64 v[86:87], v[50:51], s[30:31]
	v_fma_f64 v[74:75], v[28:29], s[8:9], -v[74:75]
	v_fmac_f64_e32 v[76:77], s[24:25], v[30:31]
	v_add_f64 v[48:49], v[98:99], v[48:49]
	v_fma_f64 v[98:99], s[16:17], v[20:21], v[90:91]
	v_fma_f64 v[90:91], s[34:35], v[16:17], v[86:87]
	v_add_f64 v[62:63], v[74:75], v[62:63]
	v_add_f64 v[74:75], v[76:77], v[84:85]
	v_fma_f64 v[76:77], v[36:37], s[12:13], -v[78:79]
	v_fmac_f64_e32 v[80:81], s[2:3], v[38:39]
	v_add_f64 v[72:73], v[90:91], v[72:73]
	v_mul_f64 v[90:91], v[10:11], s[20:21]
	v_add_f64 v[62:63], v[76:77], v[62:63]
	v_add_f64 v[74:75], v[80:81], v[74:75]
	v_fma_f64 v[76:77], v[44:45], s[30:31], -v[82:83]
	v_fmac_f64_e32 v[86:87], s[28:29], v[16:17]
	v_add_f64 v[62:63], v[76:77], v[62:63]
	v_add_f64 v[76:77], v[86:87], v[74:75]
	v_fma_f64 v[74:75], v[20:21], s[10:11], -v[90:91]
	v_add_f64 v[74:75], v[74:75], v[62:63]
	v_mul_f64 v[62:63], v[34:35], s[22:23]
	v_fma_f64 v[34:35], s[12:13], v[28:29], v[62:63]
	v_mul_f64 v[78:79], v[32:33], s[12:13]
	v_mul_f64 v[42:43], v[42:43], s[14:15]
	v_add_f64 v[34:35], v[34:35], v[92:93]
	v_fma_f64 v[32:33], s[2:3], v[30:31], v[78:79]
	v_fma_f64 v[80:81], s[16:17], v[36:37], v[42:43]
	v_mul_f64 v[40:41], v[40:41], s[16:17]
	v_add_f64 v[52:53], v[98:99], v[52:53]
	v_mul_f64 v[98:99], v[22:23], s[16:17]
	v_add_f64 v[32:33], v[32:33], v[88:89]
	v_add_f64 v[34:35], v[80:81], v[34:35]
	v_fma_f64 v[80:81], s[26:27], v[38:39], v[40:41]
	v_mul_f64 v[18:19], v[18:19], s[20:21]
	v_add_f64 v[14:15], v[100:101], v[14:15]
	v_fma_f64 v[100:101], s[26:27], v[8:9], v[98:99]
	v_fmac_f64_e32 v[98:99], s[14:15], v[8:9]
	v_add_f64 v[32:33], v[80:81], v[32:33]
	v_fma_f64 v[80:81], s[10:11], v[44:45], v[18:19]
	v_mul_f64 v[50:51], v[50:51], s[10:11]
	v_fma_f64 v[28:29], v[28:29], s[12:13], -v[62:63]
	v_fmac_f64_e32 v[78:79], s[22:23], v[30:31]
	v_add_f64 v[60:61], v[98:99], v[60:61]
	v_fma_f64 v[98:99], s[10:11], v[20:21], v[90:91]
	v_add_f64 v[34:35], v[80:81], v[34:35]
	v_fma_f64 v[80:81], s[18:19], v[16:17], v[50:51]
	v_mul_f64 v[10:11], v[10:11], s[6:7]
	v_add_f64 v[28:29], v[28:29], v[94:95]
	v_add_f64 v[30:31], v[78:79], v[96:97]
	v_fma_f64 v[36:37], v[36:37], s[16:17], -v[42:43]
	v_fmac_f64_e32 v[40:41], s[14:15], v[38:39]
	v_add_f64 v[70:71], v[98:99], v[70:71]
	v_mul_f64 v[98:99], v[22:23], s[10:11]
	v_add_f64 v[80:81], v[80:81], v[32:33]
	v_fma_f64 v[32:33], s[8:9], v[20:21], v[10:11]
	v_mul_f64 v[22:23], v[22:23], s[8:9]
	v_add_f64 v[28:29], v[36:37], v[28:29]
	v_add_f64 v[30:31], v[40:41], v[30:31]
	v_fma_f64 v[18:19], v[44:45], s[10:11], -v[18:19]
	v_fmac_f64_e32 v[50:51], s[20:21], v[16:17]
	v_add_f64 v[32:33], v[32:33], v[34:35]
	v_fma_f64 v[34:35], s[24:25], v[8:9], v[22:23]
	v_add_f64 v[18:19], v[18:19], v[28:29]
	v_add_f64 v[28:29], v[50:51], v[30:31]
	v_fma_f64 v[10:11], v[20:21], s[8:9], -v[10:11]
	v_fmac_f64_e32 v[22:23], s[6:7], v[8:9]
	v_add_f64 v[54:55], v[100:101], v[54:55]
	v_fma_f64 v[100:101], s[18:19], v[8:9], v[98:99]
	v_fmac_f64_e32 v[98:99], s[20:21], v[8:9]
	v_add_f64 v[34:35], v[34:35], v[80:81]
	v_add_f64 v[16:17], v[10:11], v[18:19]
	v_add_f64 v[18:19], v[22:23], v[28:29]
	v_mad_u32_u24 v8, v66, s33, v67
	v_add_f64 v[72:73], v[100:101], v[72:73]
	v_add_f64 v[76:77], v[98:99], v[76:77]
	s_waitcnt lgkmcnt(0)
	; wave barrier
	ds_write_b128 v8, v[0:3]
	ds_write_b128 v8, v[4:7] offset:16
	ds_write_b128 v8, v[12:15] offset:32
	;; [unrolled: 1-line block ×10, first 2 shown]
	s_waitcnt lgkmcnt(0)
	; wave barrier
	s_waitcnt lgkmcnt(0)
	ds_read_b128 v[0:3], v69
	ds_read_b128 v[8:11], v67 offset:512
	ds_read_b128 v[4:7], v67 offset:3328
	;; [unrolled: 1-line block ×9, first 2 shown]
	v_cmp_gt_u32_e32 vcc, 16, v66
                                        ; implicit-def: $vgpr50_vgpr51
	s_and_saveexec_b64 s[2:3], vcc
	s_cbranch_execz .LBB0_21
; %bb.20:
	ds_read_b128 v[24:27], v67 offset:2560
	ds_read_b128 v[48:51], v67 offset:5376
.LBB0_21:
	s_or_b64 exec, exec, s[2:3]
	v_or_b32_e32 v52, 64, v66
	v_mul_lo_u16_e32 v54, 0xbb, v52
	v_lshrrev_b16_e32 v90, 11, v54
	v_mul_lo_u16_e32 v54, 11, v90
	v_mov_b32_e32 v53, 4
	v_sub_u16_e32 v52, v52, v54
	v_lshlrev_b32_sdwa v91, v53, v52 dst_sel:DWORD dst_unused:UNUSED_PAD src0_sel:DWORD src1_sel:BYTE_0
	v_or_b32_e32 v52, 0x60, v66
	v_mul_lo_u16_e32 v54, 0xbb, v52
	v_lshrrev_b16_e32 v92, 11, v54
	v_mul_lo_u16_e32 v54, 11, v92
	v_sub_u16_e32 v52, v52, v54
	v_lshlrev_b32_sdwa v93, v53, v52 dst_sel:DWORD dst_unused:UNUSED_PAD src0_sel:DWORD src1_sel:BYTE_0
	v_or_b32_e32 v52, 0x80, v66
	v_mul_lo_u16_e32 v54, 0x75, v52
	v_sub_u16_sdwa v55, v52, v54 dst_sel:DWORD dst_unused:UNUSED_PAD src0_sel:DWORD src1_sel:BYTE_1
	v_lshrrev_b16_e32 v55, 1, v55
	v_and_b32_e32 v55, 0x7f, v55
	v_add_u16_sdwa v54, v55, v54 dst_sel:DWORD dst_unused:UNUSED_PAD src0_sel:DWORD src1_sel:BYTE_1
	v_lshrrev_b16_e32 v54, 3, v54
	v_mul_lo_u16_e32 v36, 24, v66
	v_and_b32_e32 v94, 31, v54
	v_lshrrev_b16_e32 v86, 8, v36
	v_mul_lo_u16_e32 v54, 11, v94
	v_mul_lo_u16_e32 v36, 11, v86
	v_sub_u16_e32 v52, v52, v54
	v_sub_u16_e32 v36, v66, v36
	v_lshlrev_b32_sdwa v95, v53, v52 dst_sel:DWORD dst_unused:UNUSED_PAD src0_sel:DWORD src1_sel:BYTE_0
	v_mul_lo_u16_e32 v52, 0x75, v57
	v_lshlrev_b32_sdwa v87, v53, v36 dst_sel:DWORD dst_unused:UNUSED_PAD src0_sel:DWORD src1_sel:BYTE_0
	v_or_b32_e32 v36, 32, v66
	v_sub_u16_sdwa v54, v57, v52 dst_sel:DWORD dst_unused:UNUSED_PAD src0_sel:DWORD src1_sel:BYTE_1
	v_mul_lo_u16_e32 v37, 47, v36
	v_lshrrev_b16_e32 v54, 1, v54
	v_lshrrev_b16_e32 v88, 9, v37
	v_and_b32_e32 v54, 0x7f, v54
	v_mul_lo_u16_e32 v37, 11, v88
	v_add_u16_sdwa v52, v54, v52 dst_sel:DWORD dst_unused:UNUSED_PAD src0_sel:DWORD src1_sel:BYTE_1
	v_sub_u16_e32 v36, v36, v37
	v_lshrrev_b16_e32 v52, 3, v52
	v_lshlrev_b32_sdwa v89, v53, v36 dst_sel:DWORD dst_unused:UNUSED_PAD src0_sel:DWORD src1_sel:BYTE_0
	global_load_dwordx4 v[36:39], v87, s[4:5]
	global_load_dwordx4 v[58:61], v89, s[4:5]
	;; [unrolled: 1-line block ×3, first 2 shown]
	v_mul_lo_u16_e32 v54, 11, v52
	global_load_dwordx4 v[74:77], v93, s[4:5]
	global_load_dwordx4 v[78:81], v95, s[4:5]
	v_sub_u16_e32 v54, v57, v54
	v_lshlrev_b32_sdwa v53, v53, v54 dst_sel:DWORD dst_unused:UNUSED_PAD src0_sel:DWORD src1_sel:BYTE_0
	global_load_dwordx4 v[82:85], v53, s[4:5]
	s_movk_i32 s6, 0x160
	s_waitcnt lgkmcnt(0)
	; wave barrier
	s_waitcnt vmcnt(5) lgkmcnt(0)
	v_mul_f64 v[54:55], v[34:35], v[38:39]
	v_mul_f64 v[38:39], v[32:33], v[38:39]
	v_fmac_f64_e32 v[54:55], v[32:33], v[36:37]
	v_fma_f64 v[32:33], v[34:35], v[36:37], -v[38:39]
	s_waitcnt vmcnt(4)
	v_mul_f64 v[34:35], v[6:7], v[60:61]
	s_waitcnt vmcnt(3)
	v_mul_f64 v[38:39], v[14:15], v[72:73]
	v_mul_f64 v[36:37], v[4:5], v[60:61]
	s_waitcnt vmcnt(2)
	v_mul_f64 v[62:63], v[18:19], v[76:77]
	v_fmac_f64_e32 v[34:35], v[4:5], v[58:59]
	v_fmac_f64_e32 v[38:39], v[12:13], v[70:71]
	v_mul_f64 v[60:61], v[12:13], v[72:73]
	v_mul_f64 v[72:73], v[16:17], v[76:77]
	v_fma_f64 v[36:37], v[6:7], v[58:59], -v[36:37]
	v_fmac_f64_e32 v[62:63], v[16:17], v[74:75]
	v_add_f64 v[16:17], v[8:9], -v[34:35]
	v_add_f64 v[12:13], v[44:45], -v[38:39]
	v_fma_f64 v[14:15], v[14:15], v[70:71], -v[60:61]
	v_fma_f64 v[58:59], v[18:19], v[74:75], -v[72:73]
	v_add_f64 v[4:5], v[0:1], -v[54:55]
	v_add_f64 v[18:19], v[10:11], -v[36:37]
	v_fma_f64 v[36:37], v[8:9], 2.0, -v[16:17]
	v_fma_f64 v[8:9], v[44:45], 2.0, -v[12:13]
	s_waitcnt vmcnt(1)
	v_mul_f64 v[44:45], v[30:31], v[80:81]
	s_waitcnt vmcnt(0)
	v_mul_f64 v[54:55], v[50:51], v[84:85]
	v_add_f64 v[14:15], v[46:47], -v[14:15]
	v_fmac_f64_e32 v[44:45], v[28:29], v[78:79]
	v_fmac_f64_e32 v[54:55], v[48:49], v[82:83]
	v_fma_f64 v[38:39], v[10:11], 2.0, -v[18:19]
	v_fma_f64 v[10:11], v[46:47], 2.0, -v[14:15]
	v_mul_f64 v[46:47], v[28:29], v[80:81]
	v_add_f64 v[28:29], v[20:21], -v[44:45]
	v_add_f64 v[44:45], v[24:25], -v[54:55]
	;; [unrolled: 1-line block ×4, first 2 shown]
	v_mul_f64 v[58:59], v[48:49], v[84:85]
	v_fma_f64 v[48:49], v[24:25], 2.0, -v[44:45]
	v_mad_u32_u24 v24, v86, s6, 0
	v_fma_f64 v[0:1], v[0:1], 2.0, -v[4:5]
	v_fma_f64 v[2:3], v[2:3], 2.0, -v[6:7]
	v_add3_u32 v24, v24, v87, v56
	ds_write_b128 v24, v[0:3]
	ds_write_b128 v24, v[4:7] offset:176
	v_mad_u32_u24 v24, v88, s6, 0
	v_add3_u32 v24, v24, v89, v56
	ds_write_b128 v24, v[36:39]
	ds_write_b128 v24, v[16:19] offset:176
	v_mad_u32_u24 v24, v90, s6, 0
	v_add3_u32 v24, v24, v91, v56
	v_add_f64 v[32:33], v[40:41], -v[62:63]
	ds_write_b128 v24, v[8:11]
	ds_write_b128 v24, v[12:15] offset:176
	v_mad_u32_u24 v24, v92, s6, 0
	v_fma_f64 v[40:41], v[40:41], 2.0, -v[32:33]
	v_fma_f64 v[42:43], v[42:43], 2.0, -v[34:35]
	v_add3_u32 v24, v24, v93, v56
	v_fma_f64 v[30:31], v[30:31], v[78:79], -v[46:47]
	v_fma_f64 v[46:47], v[50:51], v[82:83], -v[58:59]
	ds_write_b128 v24, v[40:43]
	ds_write_b128 v24, v[32:35] offset:176
	v_and_b32_e32 v24, 0xffff, v94
	v_add_f64 v[30:31], v[22:23], -v[30:31]
	v_add_f64 v[46:47], v[26:27], -v[46:47]
	v_mad_u32_u24 v24, v24, s6, 0
	v_fma_f64 v[20:21], v[20:21], 2.0, -v[28:29]
	v_fma_f64 v[22:23], v[22:23], 2.0, -v[30:31]
	;; [unrolled: 1-line block ×3, first 2 shown]
	v_add3_u32 v24, v24, v95, v56
	ds_write_b128 v24, v[20:23]
	ds_write_b128 v24, v[28:31] offset:176
	s_and_saveexec_b64 s[2:3], vcc
	s_cbranch_execz .LBB0_23
; %bb.22:
	v_mad_u32_u24 v24, v52, s6, 0
	v_add3_u32 v24, v24, v53, v56
	ds_write_b128 v24, v[48:51]
	ds_write_b128 v24, v[44:47] offset:176
.LBB0_23:
	s_or_b64 exec, exec, s[2:3]
	v_cmp_gt_u32_e32 vcc, 22, v66
	s_waitcnt lgkmcnt(0)
	; wave barrier
	s_waitcnt lgkmcnt(0)
                                        ; implicit-def: $vgpr26_vgpr27
                                        ; implicit-def: $vgpr54_vgpr55
                                        ; implicit-def: $vgpr62_vgpr63
                                        ; implicit-def: $vgpr58_vgpr59
	s_and_saveexec_b64 s[2:3], vcc
	s_cbranch_execz .LBB0_25
; %bb.24:
	ds_read_b128 v[0:3], v69
	ds_read_b128 v[4:7], v67 offset:352
	ds_read_b128 v[36:39], v67 offset:704
	;; [unrolled: 1-line block ×15, first 2 shown]
.LBB0_25:
	s_or_b64 exec, exec, s[2:3]
	s_waitcnt lgkmcnt(0)
	; wave barrier
	s_waitcnt lgkmcnt(0)
	s_and_saveexec_b64 s[2:3], vcc
	s_cbranch_execz .LBB0_27
; %bb.26:
	v_subrev_u32_e32 v70, 22, v66
	v_cndmask_b32_e32 v70, v70, v66, vcc
	v_mul_i32_i24_e32 v70, 15, v70
	v_mov_b32_e32 v71, 0
	v_lshl_add_u64 v[118:119], v[70:71], 4, s[4:5]
	global_load_dwordx4 v[70:73], v[118:119], off offset:192
	global_load_dwordx4 v[74:77], v[118:119], off offset:320
	;; [unrolled: 1-line block ×12, first 2 shown]
	s_mov_b32 s4, 0x667f3bcd
	s_mov_b32 s5, 0x3fe6a09e
	;; [unrolled: 1-line block ×12, first 2 shown]
	s_waitcnt vmcnt(11)
	v_mul_f64 v[120:121], v[36:37], v[72:73]
	v_mul_f64 v[122:123], v[38:39], v[72:73]
	v_fma_f64 v[120:121], v[38:39], v[70:71], -v[120:121]
	v_fmac_f64_e32 v[122:123], v[36:37], v[70:71]
	s_waitcnt vmcnt(10)
	v_mul_f64 v[70:71], v[48:49], v[76:77]
	v_mul_f64 v[76:77], v[50:51], v[76:77]
	global_load_dwordx4 v[36:39], v[118:119], off offset:368
	v_fma_f64 v[124:125], v[50:51], v[74:75], -v[70:71]
	v_fmac_f64_e32 v[76:77], v[48:49], v[74:75]
	global_load_dwordx4 v[48:51], v[118:119], off offset:272
	global_load_dwordx4 v[70:73], v[118:119], off offset:400
	s_waitcnt vmcnt(12)
	v_mul_f64 v[74:75], v[42:43], v[80:81]
	v_mul_f64 v[80:81], v[40:41], v[80:81]
	v_fmac_f64_e32 v[74:75], v[40:41], v[78:79]
	v_fma_f64 v[40:41], v[42:43], v[78:79], -v[80:81]
	s_waitcnt vmcnt(11)
	v_mul_f64 v[42:43], v[62:63], v[84:85]
	v_mul_f64 v[84:85], v[60:61], v[84:85]
	v_fmac_f64_e32 v[42:43], v[60:61], v[82:83]
	v_fma_f64 v[60:61], v[62:63], v[82:83], -v[84:85]
	s_waitcnt vmcnt(8)
	v_mul_f64 v[84:85], v[16:17], v[96:97]
	v_mul_f64 v[96:97], v[18:19], v[96:97]
	v_fma_f64 v[18:19], v[18:19], v[94:95], -v[84:85]
	v_fmac_f64_e32 v[96:97], v[16:17], v[94:95]
	s_waitcnt vmcnt(4)
	v_mul_f64 v[94:95], v[44:45], v[112:113]
	v_mul_f64 v[112:113], v[46:47], v[112:113]
	v_fma_f64 v[46:47], v[46:47], v[110:111], -v[94:95]
	v_mul_f64 v[82:83], v[4:5], v[100:101]
	s_waitcnt vmcnt(3)
	v_mul_f64 v[16:17], v[28:29], v[116:117]
	v_mul_f64 v[84:85], v[14:15], v[108:109]
	;; [unrolled: 1-line block ×3, first 2 shown]
	v_fmac_f64_e32 v[112:113], v[44:45], v[110:111]
	v_mul_f64 v[78:79], v[20:21], v[88:89]
	v_fmac_f64_e32 v[80:81], v[8:9], v[90:91]
	v_mul_f64 v[62:63], v[26:27], v[104:105]
	v_fmac_f64_e32 v[62:63], v[24:25], v[102:103]
	v_fmac_f64_e32 v[84:85], v[12:13], v[106:107]
	v_add_f64 v[42:43], v[74:75], -v[42:43]
	v_add_f64 v[46:47], v[18:19], -v[46:47]
	v_add_f64 v[60:61], v[40:41], -v[60:61]
	v_add_f64 v[112:113], v[96:97], -v[112:113]
	s_waitcnt vmcnt(2)
	v_mul_f64 v[44:45], v[54:55], v[38:39]
	v_fmac_f64_e32 v[44:45], v[52:53], v[36:37]
	s_waitcnt vmcnt(1)
	v_mul_f64 v[94:95], v[34:35], v[50:51]
	v_mul_f64 v[50:51], v[32:33], v[50:51]
	v_fmac_f64_e32 v[94:95], v[32:33], v[48:49]
	v_fma_f64 v[32:33], v[34:35], v[48:49], -v[50:51]
	v_mul_f64 v[48:49], v[6:7], v[100:101]
	v_fmac_f64_e32 v[48:49], v[4:5], v[98:99]
	v_mul_f64 v[4:5], v[30:31], v[116:117]
	v_fmac_f64_e32 v[4:5], v[28:29], v[114:115]
	v_add_f64 v[28:29], v[48:49], -v[4:5]
	v_mul_f64 v[4:5], v[12:13], v[108:109]
	v_fma_f64 v[14:15], v[14:15], v[106:107], -v[4:5]
	v_mul_f64 v[4:5], v[52:53], v[38:39]
	v_fma_f64 v[4:5], v[54:55], v[36:37], -v[4:5]
	s_waitcnt vmcnt(0)
	v_mul_f64 v[110:111], v[58:59], v[72:73]
	v_mul_f64 v[34:35], v[56:57], v[72:73]
	v_fma_f64 v[72:73], v[6:7], v[98:99], -v[82:83]
	v_fma_f64 v[6:7], v[30:31], v[114:115], -v[16:17]
	v_add_f64 v[30:31], v[14:15], -v[4:5]
	v_mul_f64 v[4:5], v[8:9], v[92:93]
	v_fma_f64 v[8:9], v[10:11], v[90:91], -v[4:5]
	v_mul_f64 v[4:5], v[24:25], v[104:105]
	v_fma_f64 v[50:51], v[22:23], v[86:87], -v[78:79]
	v_fma_f64 v[4:5], v[26:27], v[102:103], -v[4:5]
	v_add_f64 v[50:51], v[2:3], -v[50:51]
	v_add_f64 v[24:25], v[8:9], -v[4:5]
	v_fma_f64 v[16:17], v[58:59], v[70:71], -v[34:35]
	v_add_f64 v[58:59], v[122:123], -v[76:77]
	v_fma_f64 v[26:27], v[2:3], 2.0, -v[50:51]
	v_fma_f64 v[2:3], v[8:9], 2.0, -v[24:25]
	v_add_f64 v[34:35], v[120:121], -v[124:125]
	v_add_f64 v[44:45], v[84:85], -v[44:45]
	;; [unrolled: 1-line block ×3, first 2 shown]
	v_fma_f64 v[36:37], v[122:123], 2.0, -v[58:59]
	v_fma_f64 v[2:3], v[74:75], 2.0, -v[42:43]
	v_fmac_f64_e32 v[110:111], v[56:57], v[70:71]
	v_add_f64 v[56:57], v[80:81], -v[62:63]
	v_add_f64 v[62:63], v[72:73], -v[6:7]
	;; [unrolled: 1-line block ×4, first 2 shown]
	v_mul_f64 v[4:5], v[22:23], v[88:89]
	v_add_f64 v[42:43], v[36:37], -v[2:3]
	v_fma_f64 v[2:3], v[14:15], 2.0, -v[30:31]
	v_fma_f64 v[48:49], v[48:49], 2.0, -v[28:29]
	v_fma_f64 v[14:15], v[84:85], 2.0, -v[44:45]
	v_add_f64 v[98:99], v[62:63], -v[44:45]
	v_fmac_f64_e32 v[4:5], v[20:21], v[86:87]
	v_add_f64 v[84:85], v[48:49], -v[14:15]
	v_fma_f64 v[44:45], v[18:19], 2.0, -v[46:47]
	v_fma_f64 v[14:15], v[32:33], 2.0, -v[16:17]
	v_add_f64 v[70:71], v[94:95], -v[110:111]
	v_add_f64 v[22:23], v[0:1], -v[4:5]
	v_fma_f64 v[72:73], v[72:73], 2.0, -v[62:63]
	v_add_f64 v[92:93], v[44:45], -v[14:15]
	v_fma_f64 v[32:33], v[120:121], 2.0, -v[34:35]
	v_fma_f64 v[14:15], v[40:41], 2.0, -v[60:61]
	v_add_f64 v[78:79], v[50:51], -v[56:57]
	v_add_f64 v[82:83], v[58:59], v[60:61]
	v_add_f64 v[100:101], v[46:47], -v[70:71]
	v_add_f64 v[124:125], v[112:113], v[16:17]
	v_add_f64 v[38:39], v[28:29], v[30:31]
	;; [unrolled: 1-line block ×3, first 2 shown]
	v_add_f64 v[88:89], v[72:73], -v[2:3]
	v_fma_f64 v[30:31], v[96:97], 2.0, -v[112:113]
	v_fma_f64 v[2:3], v[94:95], 2.0, -v[70:71]
	v_add_f64 v[40:41], v[32:33], -v[14:15]
	v_fma_f64 v[110:111], s[4:5], v[76:77], v[78:79]
	v_fma_f64 v[118:119], s[4:5], v[100:101], v[98:99]
	;; [unrolled: 1-line block ×4, first 2 shown]
	v_add_f64 v[70:71], v[30:31], -v[2:3]
	v_fma_f64 v[50:51], v[50:51], 2.0, -v[78:79]
	v_fma_f64 v[18:19], v[34:35], 2.0, -v[76:77]
	;; [unrolled: 1-line block ×4, first 2 shown]
	v_fmac_f64_e32 v[110:111], s[6:7], v[82:83]
	v_fmac_f64_e32 v[118:119], s[6:7], v[124:125]
	;; [unrolled: 1-line block ×4, first 2 shown]
	v_fma_f64 v[60:61], v[0:1], 2.0, -v[22:23]
	v_fma_f64 v[0:1], v[80:81], 2.0, -v[56:57]
	v_fma_f64 v[76:77], s[6:7], v[18:19], v[50:51]
	v_fma_f64 v[34:35], v[58:59], 2.0, -v[82:83]
	v_fma_f64 v[24:25], v[46:47], 2.0, -v[100:101]
	;; [unrolled: 1-line block ×3, first 2 shown]
	v_add_f64 v[106:107], v[104:105], -v[26:27]
	v_fma_f64 v[108:109], v[48:49], 2.0, -v[84:85]
	v_fma_f64 v[26:27], v[30:31], 2.0, -v[70:71]
	v_add_f64 v[74:75], v[8:9], -v[42:43]
	v_add_f64 v[90:91], v[88:89], -v[70:71]
	;; [unrolled: 1-line block ×3, first 2 shown]
	v_fmac_f64_e32 v[76:77], s[6:7], v[34:35]
	v_fma_f64 v[102:103], s[6:7], v[34:35], v[100:101]
	v_add_f64 v[70:71], v[108:109], -v[26:27]
	v_fma_f64 v[26:27], v[36:37], 2.0, -v[42:43]
	v_fma_f64 v[34:35], v[78:79], 2.0, -v[110:111]
	;; [unrolled: 1-line block ×6, first 2 shown]
	v_fma_f64 v[36:37], s[8:9], v[42:43], v[34:35]
	v_fma_f64 v[38:39], v[38:39], 2.0, -v[52:53]
	v_fma_f64 v[58:59], v[62:63], 2.0, -v[98:99]
	v_add_f64 v[114:115], v[112:113], -v[26:27]
	v_fma_f64 v[26:27], v[44:45], 2.0, -v[92:93]
	v_fmac_f64_e32 v[36:37], s[14:15], v[38:39]
	v_fma_f64 v[44:45], v[54:55], 2.0, -v[86:87]
	v_add_f64 v[80:81], v[56:57], v[40:41]
	v_fma_f64 v[62:63], s[6:7], v[24:25], v[58:59]
	v_fma_f64 v[40:41], v[34:35], 2.0, -v[36:37]
	v_fma_f64 v[34:35], s[8:9], v[38:39], v[44:45]
	v_add_f64 v[94:95], v[84:85], v[92:93]
	v_fmac_f64_e32 v[62:63], s[6:7], v[46:47]
	v_fma_f64 v[96:97], s[6:7], v[46:47], v[82:83]
	v_fmac_f64_e32 v[34:35], s[10:11], v[42:43]
	v_fma_f64 v[8:9], v[8:9], 2.0, -v[74:75]
	v_fma_f64 v[46:47], v[88:89], 2.0, -v[90:91]
	;; [unrolled: 1-line block ×3, first 2 shown]
	v_fma_f64 v[44:45], s[6:7], v[46:47], v[8:9]
	v_fma_f64 v[42:43], v[84:85], 2.0, -v[94:95]
	v_fmac_f64_e32 v[44:45], s[6:7], v[42:43]
	v_fma_f64 v[48:49], v[8:9], 2.0, -v[44:45]
	v_fma_f64 v[8:9], v[56:57], 2.0, -v[80:81]
	v_fma_f64 v[42:43], s[6:7], v[42:43], v[8:9]
	v_fmac_f64_e32 v[42:43], s[4:5], v[46:47]
	v_fma_f64 v[6:7], s[10:11], v[118:119], v[110:111]
	v_fmac_f64_e32 v[96:97], s[4:5], v[24:25]
	v_fma_f64 v[46:47], v[8:9], 2.0, -v[42:43]
	v_fma_f64 v[8:9], v[50:51], 2.0, -v[76:77]
	;; [unrolled: 1-line block ×3, first 2 shown]
	v_fmac_f64_e32 v[6:7], s[8:9], v[52:53]
	v_fma_f64 v[4:5], s[10:11], v[52:53], v[86:87]
	v_fma_f64 v[52:53], s[14:15], v[54:55], v[8:9]
	v_fma_f64 v[50:51], v[82:83], 2.0, -v[96:97]
	v_fmac_f64_e32 v[102:103], s[4:5], v[18:19]
	v_fmac_f64_e32 v[52:53], s[8:9], v[50:51]
	v_fma_f64 v[56:57], v[8:9], 2.0, -v[52:53]
	v_fma_f64 v[8:9], v[100:101], 2.0, -v[102:103]
	;; [unrolled: 1-line block ×3, first 2 shown]
	v_fma_f64 v[50:51], s[14:15], v[50:51], v[8:9]
	v_add_f64 v[72:73], v[60:61], -v[26:27]
	v_fmac_f64_e32 v[50:51], s[12:13], v[54:55]
	v_fma_f64 v[54:55], v[8:9], 2.0, -v[50:51]
	v_fma_f64 v[8:9], v[104:105], 2.0, -v[106:107]
	;; [unrolled: 1-line block ×3, first 2 shown]
	v_add_f64 v[60:61], v[8:9], -v[58:59]
	v_add_f64 v[26:27], v[114:115], v[72:73]
	v_fma_f64 v[72:73], v[8:9], 2.0, -v[60:61]
	v_fma_f64 v[8:9], v[112:113], 2.0, -v[114:115]
	;; [unrolled: 1-line block ×3, first 2 shown]
	v_fma_f64 v[2:3], s[4:5], v[90:91], v[74:75]
	v_fma_f64 v[0:1], s[4:5], v[94:95], v[80:81]
	v_fma_f64 v[20:21], s[12:13], v[62:63], v[76:77]
	v_fma_f64 v[18:19], s[12:13], v[96:97], v[102:103]
	v_add_f64 v[58:59], v[8:9], -v[58:59]
	v_fmac_f64_e32 v[4:5], s[12:13], v[118:119]
	v_fmac_f64_e32 v[2:3], s[6:7], v[94:95]
	;; [unrolled: 1-line block ×5, first 2 shown]
	v_add_f64 v[28:29], v[106:107], -v[70:71]
	v_fma_f64 v[70:71], v[8:9], 2.0, -v[58:59]
	v_fma_f64 v[12:13], v[110:111], 2.0, -v[6:7]
	;; [unrolled: 1-line block ×9, first 2 shown]
	ds_write_b128 v69, v[70:73]
	ds_write_b128 v67, v[54:57] offset:352
	ds_write_b128 v67, v[46:49] offset:704
	;; [unrolled: 1-line block ×15, first 2 shown]
.LBB0_27:
	s_or_b64 exec, exec, s[2:3]
	s_waitcnt lgkmcnt(0)
	; wave barrier
	s_waitcnt lgkmcnt(0)
	s_and_saveexec_b64 s[2:3], s[0:1]
	s_cbranch_execz .LBB0_29
; %bb.28:
	v_lshl_add_u32 v12, v66, 4, v68
	ds_read_b128 v[0:3], v12
	ds_read_b128 v[4:7], v12 offset:512
	v_mov_b32_e32 v67, 0
	v_add_u32_e32 v8, 32, v66
	v_lshl_add_u64 v[10:11], v[66:67], 4, v[64:65]
	v_mov_b32_e32 v9, v67
	s_waitcnt lgkmcnt(1)
	global_store_dwordx4 v[10:11], v[0:3], off
	s_nop 1
	v_lshl_add_u64 v[0:1], v[8:9], 4, v[64:65]
	s_waitcnt lgkmcnt(0)
	global_store_dwordx4 v[0:1], v[4:7], off
	ds_read_b128 v[0:3], v12 offset:1024
	s_nop 0
	v_add_u32_e32 v4, 64, v66
	v_mov_b32_e32 v5, v67
	v_lshl_add_u64 v[8:9], v[4:5], 4, v[64:65]
	ds_read_b128 v[4:7], v12 offset:1536
	s_waitcnt lgkmcnt(1)
	global_store_dwordx4 v[8:9], v[0:3], off
	s_nop 1
	v_add_u32_e32 v0, 0x60, v66
	v_mov_b32_e32 v1, v67
	v_lshl_add_u64 v[0:1], v[0:1], 4, v[64:65]
	s_waitcnt lgkmcnt(0)
	global_store_dwordx4 v[0:1], v[4:7], off
	ds_read_b128 v[0:3], v12 offset:2048
	s_nop 0
	v_add_u32_e32 v4, 0x80, v66
	v_mov_b32_e32 v5, v67
	v_lshl_add_u64 v[8:9], v[4:5], 4, v[64:65]
	ds_read_b128 v[4:7], v12 offset:2560
	s_waitcnt lgkmcnt(1)
	global_store_dwordx4 v[8:9], v[0:3], off
	s_nop 1
	v_add_u32_e32 v0, 0xa0, v66
	v_mov_b32_e32 v1, v67
	;; [unrolled: 14-line block ×3, first 2 shown]
	v_lshl_add_u64 v[0:1], v[0:1], 4, v[64:65]
	s_waitcnt lgkmcnt(0)
	global_store_dwordx4 v[0:1], v[4:7], off
	ds_read_b128 v[0:3], v12 offset:4096
	s_nop 0
	v_add_u32_e32 v4, 0x100, v66
	v_mov_b32_e32 v5, v67
	v_lshl_add_u64 v[8:9], v[4:5], 4, v[64:65]
	ds_read_b128 v[4:7], v12 offset:4608
	s_waitcnt lgkmcnt(1)
	global_store_dwordx4 v[8:9], v[0:3], off
	ds_read_b128 v[0:3], v12 offset:5120
	v_add_u32_e32 v8, 0x120, v66
	v_mov_b32_e32 v9, v67
	v_lshl_add_u64 v[8:9], v[8:9], 4, v[64:65]
	v_add_u32_e32 v66, 0x140, v66
	s_waitcnt lgkmcnt(1)
	global_store_dwordx4 v[8:9], v[4:7], off
	s_nop 1
	v_lshl_add_u64 v[4:5], v[66:67], 4, v[64:65]
	s_waitcnt lgkmcnt(0)
	global_store_dwordx4 v[4:5], v[0:3], off
.LBB0_29:
	s_endpgm
	.section	.rodata,"a",@progbits
	.p2align	6, 0x0
	.amdhsa_kernel fft_rtc_back_len352_factors_11_2_16_wgs_64_tpt_32_dp_ip_CI_unitstride_sbrr_C2R_dirReg
		.amdhsa_group_segment_fixed_size 0
		.amdhsa_private_segment_fixed_size 0
		.amdhsa_kernarg_size 88
		.amdhsa_user_sgpr_count 2
		.amdhsa_user_sgpr_dispatch_ptr 0
		.amdhsa_user_sgpr_queue_ptr 0
		.amdhsa_user_sgpr_kernarg_segment_ptr 1
		.amdhsa_user_sgpr_dispatch_id 0
		.amdhsa_user_sgpr_kernarg_preload_length 0
		.amdhsa_user_sgpr_kernarg_preload_offset 0
		.amdhsa_user_sgpr_private_segment_size 0
		.amdhsa_uses_dynamic_stack 0
		.amdhsa_enable_private_segment 0
		.amdhsa_system_sgpr_workgroup_id_x 1
		.amdhsa_system_sgpr_workgroup_id_y 0
		.amdhsa_system_sgpr_workgroup_id_z 0
		.amdhsa_system_sgpr_workgroup_info 0
		.amdhsa_system_vgpr_workitem_id 0
		.amdhsa_next_free_vgpr 126
		.amdhsa_next_free_sgpr 36
		.amdhsa_accum_offset 128
		.amdhsa_reserve_vcc 1
		.amdhsa_float_round_mode_32 0
		.amdhsa_float_round_mode_16_64 0
		.amdhsa_float_denorm_mode_32 3
		.amdhsa_float_denorm_mode_16_64 3
		.amdhsa_dx10_clamp 1
		.amdhsa_ieee_mode 1
		.amdhsa_fp16_overflow 0
		.amdhsa_tg_split 0
		.amdhsa_exception_fp_ieee_invalid_op 0
		.amdhsa_exception_fp_denorm_src 0
		.amdhsa_exception_fp_ieee_div_zero 0
		.amdhsa_exception_fp_ieee_overflow 0
		.amdhsa_exception_fp_ieee_underflow 0
		.amdhsa_exception_fp_ieee_inexact 0
		.amdhsa_exception_int_div_zero 0
	.end_amdhsa_kernel
	.text
.Lfunc_end0:
	.size	fft_rtc_back_len352_factors_11_2_16_wgs_64_tpt_32_dp_ip_CI_unitstride_sbrr_C2R_dirReg, .Lfunc_end0-fft_rtc_back_len352_factors_11_2_16_wgs_64_tpt_32_dp_ip_CI_unitstride_sbrr_C2R_dirReg
                                        ; -- End function
	.section	.AMDGPU.csdata,"",@progbits
; Kernel info:
; codeLenInByte = 8828
; NumSgprs: 42
; NumVgprs: 126
; NumAgprs: 0
; TotalNumVgprs: 126
; ScratchSize: 0
; MemoryBound: 0
; FloatMode: 240
; IeeeMode: 1
; LDSByteSize: 0 bytes/workgroup (compile time only)
; SGPRBlocks: 5
; VGPRBlocks: 15
; NumSGPRsForWavesPerEU: 42
; NumVGPRsForWavesPerEU: 126
; AccumOffset: 128
; Occupancy: 4
; WaveLimiterHint : 1
; COMPUTE_PGM_RSRC2:SCRATCH_EN: 0
; COMPUTE_PGM_RSRC2:USER_SGPR: 2
; COMPUTE_PGM_RSRC2:TRAP_HANDLER: 0
; COMPUTE_PGM_RSRC2:TGID_X_EN: 1
; COMPUTE_PGM_RSRC2:TGID_Y_EN: 0
; COMPUTE_PGM_RSRC2:TGID_Z_EN: 0
; COMPUTE_PGM_RSRC2:TIDIG_COMP_CNT: 0
; COMPUTE_PGM_RSRC3_GFX90A:ACCUM_OFFSET: 31
; COMPUTE_PGM_RSRC3_GFX90A:TG_SPLIT: 0
	.text
	.p2alignl 6, 3212836864
	.fill 256, 4, 3212836864
	.type	__hip_cuid_ac4de5229b0000da,@object ; @__hip_cuid_ac4de5229b0000da
	.section	.bss,"aw",@nobits
	.globl	__hip_cuid_ac4de5229b0000da
__hip_cuid_ac4de5229b0000da:
	.byte	0                               ; 0x0
	.size	__hip_cuid_ac4de5229b0000da, 1

	.ident	"AMD clang version 19.0.0git (https://github.com/RadeonOpenCompute/llvm-project roc-6.4.0 25133 c7fe45cf4b819c5991fe208aaa96edf142730f1d)"
	.section	".note.GNU-stack","",@progbits
	.addrsig
	.addrsig_sym __hip_cuid_ac4de5229b0000da
	.amdgpu_metadata
---
amdhsa.kernels:
  - .agpr_count:     0
    .args:
      - .actual_access:  read_only
        .address_space:  global
        .offset:         0
        .size:           8
        .value_kind:     global_buffer
      - .offset:         8
        .size:           8
        .value_kind:     by_value
      - .actual_access:  read_only
        .address_space:  global
        .offset:         16
        .size:           8
        .value_kind:     global_buffer
      - .actual_access:  read_only
        .address_space:  global
        .offset:         24
        .size:           8
        .value_kind:     global_buffer
      - .offset:         32
        .size:           8
        .value_kind:     by_value
      - .actual_access:  read_only
        .address_space:  global
        .offset:         40
        .size:           8
        .value_kind:     global_buffer
      - .actual_access:  read_only
        .address_space:  global
        .offset:         48
        .size:           8
        .value_kind:     global_buffer
      - .offset:         56
        .size:           4
        .value_kind:     by_value
      - .actual_access:  read_only
        .address_space:  global
        .offset:         64
        .size:           8
        .value_kind:     global_buffer
      - .actual_access:  read_only
        .address_space:  global
        .offset:         72
        .size:           8
        .value_kind:     global_buffer
      - .address_space:  global
        .offset:         80
        .size:           8
        .value_kind:     global_buffer
    .group_segment_fixed_size: 0
    .kernarg_segment_align: 8
    .kernarg_segment_size: 88
    .language:       OpenCL C
    .language_version:
      - 2
      - 0
    .max_flat_workgroup_size: 64
    .name:           fft_rtc_back_len352_factors_11_2_16_wgs_64_tpt_32_dp_ip_CI_unitstride_sbrr_C2R_dirReg
    .private_segment_fixed_size: 0
    .sgpr_count:     42
    .sgpr_spill_count: 0
    .symbol:         fft_rtc_back_len352_factors_11_2_16_wgs_64_tpt_32_dp_ip_CI_unitstride_sbrr_C2R_dirReg.kd
    .uniform_work_group_size: 1
    .uses_dynamic_stack: false
    .vgpr_count:     126
    .vgpr_spill_count: 0
    .wavefront_size: 64
amdhsa.target:   amdgcn-amd-amdhsa--gfx950
amdhsa.version:
  - 1
  - 2
...

	.end_amdgpu_metadata
